;; amdgpu-corpus repo=triton-lang/triton kind=triton arch=gfx1201 opt=O3 lang=triton
	.amdgcn_target "amdgcn-amd-amdhsa--gfx1201"
	.amdhsa_code_object_version 5
	.text
	.globl	grouped_matmul_kernel           ; -- Begin function grouped_matmul_kernel
	.p2align	8
	.type	grouped_matmul_kernel,@function
grouped_matmul_kernel:                  ; @grouped_matmul_kernel
.Lfunc_begin0:
	.file	1 "/root/src/amdgpu-assembly/repos/triton-lang__triton-aot" "grouped_gemm.py"
	.loc	1 8 0                           ; grouped_gemm.py:8:0
	.cfi_sections .debug_frame
	.cfi_startproc
; %bb.0:
	s_load_b32 s26, s[0:1], 0x28
.Ltmp0:
	.loc	1 30 19 prologue_end            ; grouped_gemm.py:30:19
	s_wait_kmcnt 0x0
	s_cmp_lt_i32 s26, 1
	s_cbranch_scc1 .LBB0_20
; %bb.1:                                ; %.lr.ph79
	.loc	1 66 28                         ; grouped_gemm.py:66:28
	s_bfe_u32 s2, ttmp8, 0x50019
	.loc	1 54 63                         ; grouped_gemm.py:54:63
	v_lshlrev_b32_e32 v3, 3, v0
	s_lshl_b32 s12, s2, 5
	v_and_b32_e32 v1, 15, v0
	v_and_or_b32 v2, v0, 31, s12
	s_delay_alu instid0(VALU_DEP_3) | instskip(SKIP_2) | instid1(VALU_DEP_2)
	v_dual_mov_b32 v79, 0 :: v_dual_and_b32 v4, 48, v3
	s_and_b32 s13, s2, 2
	s_load_b256 s[4:11], s[0:1], 0x0
	v_lshrrev_b32_e32 v5, 1, v2
	v_bfe_u32 v70, v2, 2, 5
	v_lshl_or_b32 v4, v1, 6, v4
	s_load_b64 s[2:3], s[0:1], 0x20
	.loc	1 58 36                         ; grouped_gemm.py:58:36
	v_bfe_u32 v73, v2, 3, 4
	.loc	1 54 63                         ; grouped_gemm.py:54:63
	v_and_b32_e32 v75, 24, v5
	v_and_b32_e32 v5, 16, v0
	v_lshlrev_b32_e32 v2, 4, v2
	v_lshlrev_b32_e32 v6, 1, v0
	s_and_b32 s0, s12, 32
	v_lshl_or_b32 v69, s13, 3, v1
	v_xor_b32_e32 v4, v4, v5
	v_lshlrev_b32_e32 v5, 6, v5
	v_and_b32_e32 v77, 0x7f0, v2
	v_and_b32_e32 v2, 48, v6
	;; [unrolled: 1-line block ×3, first 2 shown]
	v_lshl_or_b32 v78, s13, 9, v4
	.loc	1 57 61                         ; grouped_gemm.py:57:61
	v_and_b32_e32 v3, 24, v3
	v_add3_u32 v4, s0, 0, v5
	.loc	1 30 19                         ; grouped_gemm.py:30:19
	v_and_b32_e32 v0, 3, v0
	v_xor_b32_e32 v2, v77, v2
	v_xor_b32_e32 v5, 32, v78
	.loc	1 54 63                         ; grouped_gemm.py:54:63
	v_or_b32_e32 v71, 32, v69
	v_or_b32_e32 v72, 32, v70
	.loc	1 58 36                         ; grouped_gemm.py:58:36
	v_or_b32_e32 v76, 16, v73
	v_lshl_add_u32 v80, v1, 1, v4
	.loc	1 30 19                         ; grouped_gemm.py:30:19
	v_lshl_or_b32 v81, v0, 4, 0x80
	v_lshlrev_b32_e32 v82, 1, v3
	v_add_nc_u32_e32 v83, 0, v2
	v_add_nc_u32_e32 v84, 0, v5
	s_mov_b32 s13, 0
	s_mov_b32 s27, ttmp9
	s_mov_b32 s28, 0
	s_wait_alu depctr_sa_sdst(0)
	s_mov_b32 s14, s13
	s_branch .LBB0_3
.LBB0_2:                                ; %._crit_edge76
                                        ;   in Loop: Header=BB0_3 Depth=1
	.loc	1 30 19                         ; grouped_gemm.py:30:19
	s_add_co_i32 s14, s14, 1
	s_mov_b32 s28, s29
	s_cmp_lg_u32 s14, s26
	s_cbranch_scc0 .LBB0_20
.LBB0_3:                                ; =>This Loop Header: Depth=1
                                        ;     Child Loop BB0_6 Depth 2
                                        ;       Child Loop BB0_17 Depth 3
	.loc	1 32 44                         ; grouped_gemm.py:32:44
	s_mul_i32 s0, s14, 3
	.loc	1 32 40 is_stmt 0               ; grouped_gemm.py:32:40
	s_wait_alu depctr_sa_sdst(0)
	s_ashr_i32 s1, s0, 31
	s_wait_alu depctr_sa_sdst(0)
	s_lshl_b64 s[0:1], s[0:1], 2
	s_wait_kmcnt 0x0
	s_wait_alu depctr_sa_sdst(0)
	s_add_nc_u64 s[16:17], s[10:11], s[0:1]
	.loc	1 32 21                         ; grouped_gemm.py:32:21
	global_load_b64 v[0:1], v79, s[16:17]
	s_wait_loadcnt 0x0
	v_readfirstlane_b32 s12, v0
	.loc	1 33 21 is_stmt 1               ; grouped_gemm.py:33:21
	v_readfirstlane_b32 s15, v1
.Ltmp1:
	.file	2 "/root/.local/lib/python3.13/site-packages/triton/language" "standard.py"
	.loc	2 43 17                         ; standard.py:43:17 @[ grouped_gemm.py:35:34 ]
	s_add_co_i32 s12, s12, 63
.Ltmp2:
	.loc	2 43 17 is_stmt 0               ; standard.py:43:17 @[ grouped_gemm.py:36:34 ]
	s_add_co_i32 s15, s15, 63
.Ltmp3:
	.loc	2 43 30                         ; standard.py:43:30 @[ grouped_gemm.py:35:34 ]
	s_wait_alu depctr_sa_sdst(0)
	s_ashr_i32 s18, s12, 31
.Ltmp4:
	.loc	2 43 30                         ; standard.py:43:30 @[ grouped_gemm.py:36:34 ]
	s_ashr_i32 s19, s15, 31
.Ltmp5:
	.loc	2 43 30                         ; standard.py:43:30 @[ grouped_gemm.py:35:34 ]
	s_wait_alu depctr_sa_sdst(0)
	s_lshr_b32 s18, s18, 26
.Ltmp6:
	.loc	2 43 30                         ; standard.py:43:30 @[ grouped_gemm.py:36:34 ]
	s_lshr_b32 s19, s19, 26
.Ltmp7:
	.loc	2 43 30                         ; standard.py:43:30 @[ grouped_gemm.py:35:34 ]
	s_wait_alu depctr_sa_sdst(0)
	s_add_co_i32 s12, s12, s18
.Ltmp8:
	.loc	2 43 30                         ; standard.py:43:30 @[ grouped_gemm.py:36:34 ]
	s_add_co_i32 s15, s15, s19
.Ltmp9:
	.loc	2 43 30                         ; standard.py:43:30 @[ grouped_gemm.py:35:34 ]
	s_wait_alu depctr_sa_sdst(0)
	s_ashr_i32 s12, s12, 6
.Ltmp10:
	.loc	2 43 30                         ; standard.py:43:30 @[ grouped_gemm.py:36:34 ]
	s_ashr_i32 s30, s15, 6
.Ltmp11:
	.loc	1 37 34 is_stmt 1               ; grouped_gemm.py:37:34
	s_wait_alu depctr_sa_sdst(0)
	s_mul_i32 s29, s30, s12
	s_delay_alu instid0(SALU_CYCLE_1)
	.loc	1 39 78                         ; grouped_gemm.py:39:78
	s_add_co_i32 s29, s29, s28
	.loc	1 39 27 is_stmt 0               ; grouped_gemm.py:39:27
	s_cmp_lt_i32 s27, s28
	s_cselect_b32 s12, -1, 0
	.loc	1 39 59                         ; grouped_gemm.py:39:59
	s_cmp_ge_i32 s27, s29
	s_cselect_b32 s15, -1, 0
	.loc	1 39 48                         ; grouped_gemm.py:39:48
	s_wait_alu depctr_sa_sdst(0)
	s_or_b32 s12, s12, s15
	s_wait_alu depctr_sa_sdst(0)
	s_and_b32 vcc_lo, exec_lo, s12
	s_wait_alu depctr_sa_sdst(0)
	s_cbranch_vccnz .LBB0_2
; %bb.4:                                ; %.lr.ph75
                                        ;   in Loop: Header=BB0_3 Depth=1
	.loc	1 34 21 is_stmt 1               ; grouped_gemm.py:34:21
	global_load_b32 v0, v79, s[16:17] offset:8
	s_mov_b32 s19, s13
.Ltmp12:
	.loc	2 43 17                         ; standard.py:43:17 @[ grouped_gemm.py:60:42 ]
	s_wait_loadcnt 0x0
	v_readfirstlane_b32 s12, v0
	s_add_co_i32 s12, s12, 31
	.loc	2 43 30 is_stmt 0               ; standard.py:43:30 @[ grouped_gemm.py:60:42 ]
	s_wait_alu depctr_sa_sdst(0)
	s_ashr_i32 s15, s12, 31
	s_delay_alu instid0(SALU_CYCLE_1)
	s_lshr_b32 s16, s15, 27
.Ltmp13:
	.loc	1 45 43 is_stmt 1               ; grouped_gemm.py:45:43
	s_mov_b32 s15, s13
.Ltmp14:
	.loc	2 43 30                         ; standard.py:43:30 @[ grouped_gemm.py:60:42 ]
	s_add_co_i32 s16, s12, s16
.Ltmp15:
	.loc	1 45 43                         ; grouped_gemm.py:45:43
	s_lshl_b64 s[24:25], s[14:15], 3
.Ltmp16:
	.loc	2 43 30                         ; standard.py:43:30 @[ grouped_gemm.py:60:42 ]
	s_ashr_i32 s16, s16, 5
	s_cmp_gt_i32 s12, 31
.Ltmp17:
	.loc	1 45 43                         ; grouped_gemm.py:45:43
	s_add_nc_u64 s[20:21], s[4:5], s[24:25]
	s_cselect_b32 s18, -1, 0
	s_cmp_gt_i32 s12, 63
	.loc	1 46 43                         ; grouped_gemm.py:46:43
	s_add_nc_u64 s[22:23], s[6:7], s[24:25]
	s_cselect_b32 s15, -1, 0
	.loc	1 39 48                         ; grouped_gemm.py:39:48
	s_max_i32 s35, s16, 2
	.loc	1 42 34                         ; grouped_gemm.py:42:34
	s_add_nc_u64 s[16:17], s[2:3], s[0:1]
	s_cmp_lg_u32 s35, 2
	.loc	1 47 43                         ; grouped_gemm.py:47:43
	s_add_nc_u64 s[24:25], s[8:9], s[24:25]
	s_cselect_b32 s31, -1, 0
	s_abs_i32 s33, s30
	.loc	1 60 31                         ; grouped_gemm.py:60:31
	s_lshl_b32 s34, s30, 6
	s_cvt_f32_u32 s12, s33
	s_sub_co_i32 s1, 0, s33
	.loc	1 39 48                         ; grouped_gemm.py:39:48
	s_add_co_i32 s35, s35, -2
	s_wait_alu depctr_sa_sdst(0)
	v_rcp_iflag_f32_e32 v0, s12
	s_delay_alu instid0(TRANS32_DEP_1) | instskip(SKIP_3) | instid1(SALU_CYCLE_2)
	v_readfirstlane_b32 s12, v0
	v_cndmask_b32_e64 v0, 0, 1, s18
	s_mul_f32 s0, s12, 0x4f7ffffe
	s_wait_alu depctr_sa_sdst(0)
	s_cvt_u32_f32 s12, s0
	s_delay_alu instid0(VALU_DEP_1) | instskip(SKIP_1) | instid1(SALU_CYCLE_1)
	v_cmp_ne_u32_e64 s0, 1, v0
	s_wait_alu depctr_sa_sdst(0)
	s_mul_i32 s18, s1, s12
	s_ashr_i32 s1, s30, 31
	s_wait_alu depctr_sa_sdst(0)
	s_mul_hi_u32 s18, s12, s18
	s_wait_alu depctr_sa_sdst(0)
	s_add_co_i32 s18, s12, s18
	s_branch .LBB0_6
.LBB0_5:                                ; %._crit_edge._crit_edge
                                        ;   in Loop: Header=BB0_6 Depth=2
	.loc	1 54 50                         ; grouped_gemm.py:54:50
	v_or_b32_e32 v33, s12, v69
	v_or_b32_e32 v34, s12, v71
	.loc	1 70 31                         ; grouped_gemm.py:70:31
	v_cvt_f16_f32_e32 v39, v8
	v_cvt_f16_f32_e32 v41, v10
	;; [unrolled: 1-line block ×3, first 2 shown]
	.loc	1 74 35                         ; grouped_gemm.py:74:35
	v_mul_lo_u32 v8, v33, v50
	v_mul_lo_u32 v10, v34, v50
	.loc	1 55 50                         ; grouped_gemm.py:55:50
	v_or_b32_e32 v32, s36, v75
	.loc	1 70 31                         ; grouped_gemm.py:70:31
	v_cvt_f16_f32_e32 v42, v11
	v_cvt_f16_f32_e32 v34, v0
	;; [unrolled: 1-line block ×4, first 2 shown]
	.loc	1 74 54                         ; grouped_gemm.py:74:54
	v_ashrrev_i32_e32 v33, 31, v32
	.loc	1 74 29 is_stmt 0               ; grouped_gemm.py:74:29
	v_ashrrev_i32_e32 v9, 31, v8
	v_ashrrev_i32_e32 v11, 31, v10
	.loc	1 70 31 is_stmt 1               ; grouped_gemm.py:70:31
	v_cvt_f16_f32_e32 v45, v3
	v_cvt_f16_f32_e32 v46, v4
	;; [unrolled: 1-line block ×3, first 2 shown]
	.loc	1 74 29                         ; grouped_gemm.py:74:29
	v_lshlrev_b64_e32 v[0:1], 1, v[8:9]
	v_lshlrev_b64_e32 v[2:3], 1, v[10:11]
	.loc	1 80 24                         ; grouped_gemm.py:80:24
	s_addk_co_i32 s27, 0x130
	.loc	1 70 31                         ; grouped_gemm.py:70:31
	v_cvt_f16_f32_e32 v35, v16
	v_cvt_f16_f32_e32 v36, v17
	;; [unrolled: 1-line block ×3, first 2 shown]
	.loc	1 74 29                         ; grouped_gemm.py:74:29
	v_add_co_u32 v4, vcc_lo, v51, v0
	s_wait_alu depctr_va_vcc(0)
	v_add_co_ci_u32_e64 v5, null, v52, v1, vcc_lo
	.loc	1 74 54 is_stmt 0               ; grouped_gemm.py:74:54
	v_lshlrev_b64_e32 v[0:1], 1, v[32:33]
	.loc	1 74 29                         ; grouped_gemm.py:74:29
	v_add_co_u32 v2, vcc_lo, v51, v2
	.loc	1 70 31 is_stmt 1               ; grouped_gemm.py:70:31
	v_cvt_f16_f32_e32 v38, v19
	v_cvt_f16_f32_e32 v20, v20
	;; [unrolled: 1-line block ×9, first 2 shown]
	.loc	1 74 29                         ; grouped_gemm.py:74:29
	s_wait_alu depctr_va_vcc(0)
	v_add_co_ci_u32_e64 v3, null, v52, v3, vcc_lo
	.loc	1 39 27                         ; grouped_gemm.py:39:27
	s_cmp_ge_i32 s27, s28
	.loc	1 70 31                         ; grouped_gemm.py:70:31
	v_cvt_f16_f32_e32 v24, v24
	v_cvt_f16_f32_e32 v25, v25
	;; [unrolled: 1-line block ×10, first 2 shown]
	.loc	1 74 54                         ; grouped_gemm.py:74:54
	v_add_co_u32 v16, vcc_lo, v4, v0
	.loc	1 39 27                         ; grouped_gemm.py:39:27
	s_cselect_b32 s12, -1, 0
	.loc	1 39 59 is_stmt 0               ; grouped_gemm.py:39:59
	s_cmp_lt_i32 s27, s29
	.loc	1 74 54 is_stmt 1               ; grouped_gemm.py:74:54
	s_wait_alu depctr_va_vcc(0)
	v_add_co_ci_u32_e64 v17, null, v5, v1, vcc_lo
	v_add_co_u32 v18, vcc_lo, v2, v0
	.loc	1 39 59                         ; grouped_gemm.py:39:59
	s_cselect_b32 s36, -1, 0
	.loc	1 74 54                         ; grouped_gemm.py:74:54
	s_wait_alu depctr_va_vcc(0)
	v_add_co_ci_u32_e64 v19, null, v3, v1, vcc_lo
	.loc	1 77 29                         ; grouped_gemm.py:77:29
	v_pack_b32_f16 v3, v22, v23
	v_pack_b32_f16 v2, v20, v21
	;; [unrolled: 1-line block ×16, first 2 shown]
	.loc	1 39 48                         ; grouped_gemm.py:39:48
	s_wait_alu depctr_sa_sdst(0)
	s_and_b32 s12, s12, s36
	.loc	1 77 29                         ; grouped_gemm.py:77:29
	s_clause 0x1
	global_store_b128 v[16:17], v[0:3], off
	global_store_b128 v[16:17], v[4:7], off offset:64
	.loc	1 39 48                         ; grouped_gemm.py:39:48
	s_wait_alu depctr_sa_sdst(0)
	s_and_b32 vcc_lo, exec_lo, s12
	.loc	1 77 29                         ; grouped_gemm.py:77:29
	s_clause 0x1
	global_store_b128 v[18:19], v[8:11], off
	global_store_b128 v[18:19], v[12:15], off offset:64
	.loc	1 39 48                         ; grouped_gemm.py:39:48
	s_wait_alu depctr_sa_sdst(0)
	s_cbranch_vccz .LBB0_2
.LBB0_6:                                ;   Parent Loop BB0_3 Depth=1
                                        ; =>  This Loop Header: Depth=2
                                        ;       Child Loop BB0_17 Depth 3
	.loc	1 42 26                         ; grouped_gemm.py:42:26
	s_clause 0x1
	global_load_b96 v[48:50], v79, s[16:17]
	global_load_b64 v[53:54], v79, s[20:21]
	.loc	1 49 42                         ; grouped_gemm.py:49:42
	s_sub_co_i32 s38, s27, s28
	v_dual_mov_b32 v32, 0 :: v_dual_mov_b32 v37, 0
	.loc	1 50 45                         ; grouped_gemm.py:50:45
	s_wait_alu depctr_sa_sdst(0)
	s_abs_i32 s12, s38
	s_ashr_i32 s36, s38, 31
	s_wait_alu depctr_sa_sdst(0)
	s_mul_u64 s[40:41], s[12:13], s[18:19]
	s_xor_b32 s37, s36, s1
	s_mul_i32 s39, s41, s33
	s_add_co_i32 s36, s41, 1
	s_wait_alu depctr_sa_sdst(0)
	s_sub_co_i32 s12, s12, s39
	v_dual_mov_b32 v36, 0 :: v_dual_mov_b32 v39, 0
	s_wait_alu depctr_sa_sdst(0)
	s_sub_co_i32 s39, s12, s33
	s_cmp_ge_u32 s12, s33
	v_mov_b32_e32 v38, 0
	s_cselect_b32 s36, s36, s41
	s_wait_alu depctr_sa_sdst(0)
	s_cselect_b32 s12, s39, s12
	s_add_co_i32 s39, s36, 1
	s_wait_alu depctr_sa_sdst(0)
	s_cmp_ge_u32 s12, s33
	s_cselect_b32 s12, s39, s36
	s_wait_alu depctr_sa_sdst(0)
	s_xor_b32 s39, s12, s37
	s_wait_alu depctr_sa_sdst(0)
	s_sub_co_i32 s40, s39, s37
	s_delay_alu instid0(SALU_CYCLE_1) | instskip(SKIP_3) | instid1(VALU_DEP_1)
	.loc	1 54 35                         ; grouped_gemm.py:54:35
	s_lshl_b32 s12, s40, 6
	.loc	1 54 50 is_stmt 0               ; grouped_gemm.py:54:50
	s_wait_alu depctr_sa_sdst(0)
	v_or_b32_e32 v0, s12, v70
	.loc	1 57 48 is_stmt 1               ; grouped_gemm.py:57:48
	s_wait_loadcnt 0x1
	v_mul_lo_u32 v0, v0, v48
	s_delay_alu instid0(VALU_DEP_1) | instskip(NEXT) | instid1(VALU_DEP_1)
	.loc	1 57 29 is_stmt 0               ; grouped_gemm.py:57:29
	v_ashrrev_i32_e32 v1, 31, v0
	v_lshlrev_b64_e32 v[0:1], 1, v[0:1]
	s_wait_loadcnt 0x0
	s_delay_alu instid0(VALU_DEP_1) | instskip(SKIP_1) | instid1(VALU_DEP_2)
	v_add_co_u32 v0, vcc_lo, v53, v0
	s_wait_alu depctr_va_vcc(0)
	v_add_co_ci_u32_e64 v1, null, v54, v1, vcc_lo
	s_delay_alu instid0(VALU_DEP_2) | instskip(SKIP_1) | instid1(VALU_DEP_2)
	.loc	1 57 54                         ; grouped_gemm.py:57:54
	v_add_co_u32 v61, vcc_lo, v0, v82
	s_wait_alu depctr_va_vcc(0)
	v_add_co_ci_u32_e64 v62, null, 0, v1, vcc_lo
	.loc	1 65 28 is_stmt 1               ; grouped_gemm.py:65:28
	s_and_b32 vcc_lo, exec_lo, s0
	s_wait_alu depctr_sa_sdst(0)
	s_cbranch_vccnz .LBB0_8
; %bb.7:                                ;   in Loop: Header=BB0_6 Depth=2
	global_load_b128 v[36:39], v[61:62], off
.LBB0_8:                                ;   in Loop: Header=BB0_6 Depth=2
	.loc	1 54 50                         ; grouped_gemm.py:54:50
	v_or_b32_e32 v0, s12, v72
	v_dual_mov_b32 v33, 0 :: v_dual_mov_b32 v34, 0
	v_mov_b32_e32 v35, 0
	s_delay_alu instid0(VALU_DEP_3) | instskip(NEXT) | instid1(VALU_DEP_1)
	.loc	1 57 48                         ; grouped_gemm.py:57:48
	v_mul_lo_u32 v0, v0, v48
	.loc	1 57 29 is_stmt 0               ; grouped_gemm.py:57:29
	v_ashrrev_i32_e32 v1, 31, v0
	s_delay_alu instid0(VALU_DEP_1) | instskip(NEXT) | instid1(VALU_DEP_1)
	v_lshlrev_b64_e32 v[0:1], 1, v[0:1]
	v_add_co_u32 v0, vcc_lo, v53, v0
	s_wait_alu depctr_va_vcc(0)
	s_delay_alu instid0(VALU_DEP_2) | instskip(NEXT) | instid1(VALU_DEP_2)
	v_add_co_ci_u32_e64 v1, null, v54, v1, vcc_lo
	.loc	1 57 54                         ; grouped_gemm.py:57:54
	v_add_co_u32 v65, vcc_lo, v0, v82
	s_wait_alu depctr_va_vcc(0)
	s_delay_alu instid0(VALU_DEP_2)
	v_add_co_ci_u32_e64 v66, null, 0, v1, vcc_lo
	.loc	1 65 28 is_stmt 1               ; grouped_gemm.py:65:28
	s_and_b32 vcc_lo, exec_lo, s0
	s_wait_alu depctr_sa_sdst(0)
	s_cbranch_vccnz .LBB0_10
; %bb.9:                                ;   in Loop: Header=BB0_6 Depth=2
	global_load_b128 v[32:35], v[65:66], off
.LBB0_10:                               ;   in Loop: Header=BB0_6 Depth=2
	.loc	1 0 0 is_stmt 0                 ; grouped_gemm.py:0
	global_load_b64 v[55:56], v79, s[22:23]
	.loc	1 58 47 is_stmt 1               ; grouped_gemm.py:58:47
	v_mul_lo_u32 v57, v49, v73
	.loc	1 51 44                         ; grouped_gemm.py:51:44
	s_mul_i32 s36, s40, s30
	v_dual_mov_b32 v40, 0 :: v_dual_mov_b32 v45, 0
	s_wait_alu depctr_sa_sdst(0)
	s_sub_co_i32 s36, s38, s36
	v_dual_mov_b32 v44, 0 :: v_dual_mov_b32 v47, 0
	.loc	1 55 35                         ; grouped_gemm.py:55:35
	s_wait_alu depctr_sa_sdst(0)
	s_lshl_b32 s36, s36, 6
	.loc	1 58 29                         ; grouped_gemm.py:58:29
	v_ashrrev_i32_e32 v58, 31, v57
	.loc	1 55 50                         ; grouped_gemm.py:55:50
	s_wait_alu depctr_sa_sdst(0)
	v_or_b32_e32 v0, s36, v74
	v_mov_b32_e32 v46, 0
	s_delay_alu instid0(VALU_DEP_3) | instskip(NEXT) | instid1(VALU_DEP_3)
	.loc	1 58 29                         ; grouped_gemm.py:58:29
	v_lshlrev_b64_e32 v[2:3], 1, v[57:58]
	.loc	1 58 53 is_stmt 0               ; grouped_gemm.py:58:53
	v_ashrrev_i32_e32 v1, 31, v0
	s_delay_alu instid0(VALU_DEP_1) | instskip(SKIP_1) | instid1(VALU_DEP_3)
	v_lshlrev_b64_e32 v[0:1], 1, v[0:1]
	.loc	1 58 29                         ; grouped_gemm.py:58:29
	s_wait_loadcnt 0x0
	v_add_co_u32 v2, vcc_lo, v55, v2
	s_wait_alu depctr_va_vcc(0)
	v_add_co_ci_u32_e64 v3, null, v56, v3, vcc_lo
	s_delay_alu instid0(VALU_DEP_2) | instskip(SKIP_1) | instid1(VALU_DEP_2)
	.loc	1 58 53                         ; grouped_gemm.py:58:53
	v_add_co_u32 v63, vcc_lo, v2, v0
	s_wait_alu depctr_va_vcc(0)
	v_add_co_ci_u32_e64 v64, null, v3, v1, vcc_lo
	.loc	1 66 28 is_stmt 1               ; grouped_gemm.py:66:28
	s_and_b32 vcc_lo, exec_lo, s0
	s_wait_alu depctr_sa_sdst(0)
	s_cbranch_vccnz .LBB0_12
; %bb.11:                               ;   in Loop: Header=BB0_6 Depth=2
	global_load_b128 v[44:47], v[63:64], off
.LBB0_12:                               ;   in Loop: Header=BB0_6 Depth=2
	.loc	1 58 47                         ; grouped_gemm.py:58:47
	v_mul_lo_u32 v59, v49, v76
	v_dual_mov_b32 v41, 0 :: v_dual_mov_b32 v42, 0
	v_mov_b32_e32 v43, 0
	s_delay_alu instid0(VALU_DEP_3) | instskip(NEXT) | instid1(VALU_DEP_1)
	.loc	1 58 29 is_stmt 0               ; grouped_gemm.py:58:29
	v_ashrrev_i32_e32 v60, 31, v59
	v_lshlrev_b64_e32 v[2:3], 1, v[59:60]
	s_delay_alu instid0(VALU_DEP_1) | instskip(SKIP_1) | instid1(VALU_DEP_2)
	v_add_co_u32 v2, vcc_lo, v55, v2
	s_wait_alu depctr_va_vcc(0)
	v_add_co_ci_u32_e64 v3, null, v56, v3, vcc_lo
	s_delay_alu instid0(VALU_DEP_2) | instskip(SKIP_1) | instid1(VALU_DEP_2)
	.loc	1 58 53                         ; grouped_gemm.py:58:53
	v_add_co_u32 v67, vcc_lo, v2, v0
	s_wait_alu depctr_va_vcc(0)
	v_add_co_ci_u32_e64 v68, null, v3, v1, vcc_lo
	.loc	1 66 28 is_stmt 1               ; grouped_gemm.py:66:28
	s_and_b32 vcc_lo, exec_lo, s0
	s_wait_alu depctr_sa_sdst(0)
	s_cbranch_vccnz .LBB0_14
; %bb.13:                               ;   in Loop: Header=BB0_6 Depth=2
	global_load_b128 v[40:43], v[67:68], off
.LBB0_14:                               ;   in Loop: Header=BB0_6 Depth=2
	.loc	1 0 0 is_stmt 0                 ; grouped_gemm.py:0
	global_load_b64 v[51:52], v79, s[24:25]
	v_dual_mov_b32 v17, 0 :: v_dual_add_nc_u32 v86, 0, v77
	v_dual_mov_b32 v16, 0 :: v_dual_add_nc_u32 v85, 0, v78
	v_dual_mov_b32 v18, 0 :: v_dual_mov_b32 v19, 0
	v_dual_mov_b32 v20, 0 :: v_dual_mov_b32 v21, 0
	;; [unrolled: 1-line block ×15, first 2 shown]
	.loc	1 60 31 is_stmt 1               ; grouped_gemm.py:60:31
	s_and_not1_b32 vcc_lo, exec_lo, s15
	.loc	1 65 28                         ; grouped_gemm.py:65:28
	s_wait_loadcnt 0x0
	s_barrier_signal -1
	s_barrier_wait -1
	global_inv scope:SCOPE_SE
	ds_store_b128 v83, v[36:39]
	ds_store_b128 v83, v[32:35] offset:2048
	.loc	1 66 28                         ; grouped_gemm.py:66:28
	ds_store_b128 v86, v[44:47] offset:4096
	ds_store_b128 v86, v[40:43] offset:6144
	.loc	1 60 31                         ; grouped_gemm.py:60:31
	s_wait_alu depctr_sa_sdst(0)
	s_cbranch_vccnz .LBB0_18
; %bb.15:                               ; %.lr.ph
                                        ;   in Loop: Header=BB0_6 Depth=2
	.loc	1 65 28                         ; grouped_gemm.py:65:28
	s_clause 0x1
	global_load_b128 v[36:39], v[61:62], off offset:64
	global_load_b128 v[40:43], v[65:66], off offset:64
	.loc	1 69 41                         ; grouped_gemm.py:69:41
	v_lshlrev_b32_e32 v34, 5, v49
	s_delay_alu instid0(VALU_DEP_1) | instskip(NEXT) | instid1(VALU_DEP_1)
	v_ashrrev_i32_e32 v35, 31, v34
	.loc	1 69 26 is_stmt 0               ; grouped_gemm.py:69:26
	v_lshlrev_b64_e32 v[32:33], 1, v[34:35]
	s_delay_alu instid0(VALU_DEP_1) | instskip(SKIP_1) | instid1(VALU_DEP_2)
	v_add_co_u32 v8, vcc_lo, v63, v32
	s_wait_alu depctr_va_vcc(0)
	v_add_co_ci_u32_e64 v9, null, v64, v33, vcc_lo
	v_add_co_u32 v10, vcc_lo, v67, v32
	s_wait_alu depctr_va_vcc(0)
	v_add_co_ci_u32_e64 v11, null, v68, v33, vcc_lo
	.loc	1 60 31 is_stmt 1               ; grouped_gemm.py:60:31
	s_and_not1_b32 vcc_lo, exec_lo, s31
	.loc	1 65 28                         ; grouped_gemm.py:65:28
	s_wait_loadcnt_dscnt 0x0
	s_barrier_signal -1
	s_barrier_wait -1
	global_inv scope:SCOPE_SE
	.loc	1 66 28                         ; grouped_gemm.py:66:28
	ds_load_u16 v1, v80 offset:4352
	ds_load_u16 v2, v80 offset:4608
	;; [unrolled: 1-line block ×9, first 2 shown]
	s_clause 0x1
	global_load_b128 v[95:98], v[8:9], off
	global_load_b128 v[99:102], v[10:11], off
	s_wait_dscnt 0x8
	ds_load_u16_d16_hi v1, v80 offset:4480
	ds_load_u16 v63, v80 offset:4672
	ds_load_u16 v64, v80 offset:4928
	;; [unrolled: 1-line block ×3, first 2 shown]
	s_wait_dscnt 0x7
	ds_load_u16_d16_hi v0, v80 offset:4224
	s_wait_dscnt 0x7
	ds_load_u16_d16_hi v61, v80 offset:4288
	ds_load_u16 v62, v80 offset:4416
	ds_load_u16 v90, v80 offset:6976
	s_wait_dscnt 0x9
	ds_load_u16_d16_hi v46, v80 offset:6784
	ds_load_u16 v47, v80 offset:6912
	ds_load_u16 v89, v80 offset:6720
	s_wait_dscnt 0xb
	ds_load_u16_d16_hi v88, v80 offset:6592
	.loc	1 65 28                         ; grouped_gemm.py:65:28
	ds_load_b128 v[4:7], v85
	.loc	1 66 28                         ; grouped_gemm.py:66:28
	s_wait_dscnt 0x3
	ds_load_u16_d16_hi v47, v80 offset:7040
	s_wait_dscnt 0x3
	ds_load_u16_d16_hi v89, v80 offset:6848
	.loc	1 65 28                         ; grouped_gemm.py:65:28
	ds_load_b128 v[65:68], v84
	ds_load_b128 v[91:94], v84 offset:2048
	.loc	1 66 28                         ; grouped_gemm.py:66:28
	ds_load_u16_d16_hi v2, v80 offset:4736
	ds_load_u16_d16_hi v3, v80 offset:4992
	;; [unrolled: 1-line block ×8, first 2 shown]
	.loc	1 65 28                         ; grouped_gemm.py:65:28
	ds_load_b128 v[103:106], v85 offset:2048
	.loc	1 66 28                         ; grouped_gemm.py:66:28
	ds_load_u16_d16_hi v90, v80 offset:7104
	.loc	1 67 41                         ; grouped_gemm.py:67:41
	s_wait_dscnt 0x8
	v_wmma_f32_16x16x16_f16 v[16:23], v[0:3], v[4:7], 0
	s_wait_dscnt 0x2
	v_wmma_f32_16x16x16_f16 v[24:31], v[61:64], v[4:7], 0
	;; [unrolled: 2-line block ×3, first 2 shown]
	v_wmma_f32_16x16x16_f16 v[0:7], v[61:64], v[103:106], 0
	v_wmma_f32_16x16x16_f16 v[16:23], v[44:47], v[65:68], v[16:23]
	s_delay_alu instid0(VALU_DEP_3)
	v_wmma_f32_16x16x16_f16 v[8:15], v[44:47], v[91:94], v[8:15]
	s_wait_dscnt 0x0
	v_wmma_f32_16x16x16_f16 v[24:31], v[87:90], v[65:68], v[24:31]
	v_wmma_f32_16x16x16_f16 v[0:7], v[87:90], v[91:94], v[0:7]
	.loc	1 65 28                         ; grouped_gemm.py:65:28
	s_wait_loadcnt 0x0
	s_barrier_signal -1
	s_barrier_wait -1
	global_inv scope:SCOPE_SE
	ds_store_b128 v83, v[36:39]
	ds_store_b128 v83, v[40:43] offset:2048
	.loc	1 66 28                         ; grouped_gemm.py:66:28
	ds_store_b128 v86, v[95:98] offset:4096
	ds_store_b128 v86, v[99:102] offset:6144
	.loc	1 60 31                         ; grouped_gemm.py:60:31
	s_wait_alu depctr_sa_sdst(0)
	s_cbranch_vccnz .LBB0_18
; %bb.16:                               ; %.peel.next.preheader
                                        ;   in Loop: Header=BB0_6 Depth=2
	v_lshl_or_b32 v36, s38, 6, v74
	s_lshl_b32 s38, s39, 6
	s_mul_i32 s39, s34, s40
	s_wait_alu depctr_sa_sdst(0)
	v_or_b32_e32 v37, s38, v72
	v_or_b32_e32 v40, s38, v70
	s_lshl_b32 s37, s37, 6
	v_subrev_nc_u32_e32 v36, s39, v36
	v_lshlrev_b64_e32 v[38:39], 1, v[59:60]
	s_wait_alu depctr_sa_sdst(0)
	v_subrev_nc_u32_e32 v41, s37, v37
	v_subrev_nc_u32_e32 v40, s37, v40
	v_lshlrev_b64_e32 v[34:35], 2, v[34:35]
	v_ashrrev_i32_e32 v37, 31, v36
	v_lshlrev_b64_e32 v[42:43], 1, v[57:58]
	v_mul_lo_u32 v44, v48, v41
	v_mul_lo_u32 v46, v48, v40
	v_add_co_u32 v38, vcc_lo, v55, v38
	v_lshlrev_b64_e32 v[36:37], 1, v[36:37]
	s_wait_alu depctr_va_vcc(0)
	v_add_co_ci_u32_e64 v39, null, v56, v39, vcc_lo
	s_mov_b32 s37, s35
	v_ashrrev_i32_e32 v45, 31, v44
	v_ashrrev_i32_e32 v47, 31, v46
	v_add_co_u32 v40, vcc_lo, v34, v36
	s_wait_alu depctr_va_vcc(0)
	v_add_co_ci_u32_e64 v41, null, v35, v37, vcc_lo
	v_add_co_u32 v42, vcc_lo, v55, v42
	v_lshlrev_b64_e32 v[34:35], 1, v[44:45]
	s_wait_alu depctr_va_vcc(0)
	v_add_co_ci_u32_e64 v43, null, v56, v43, vcc_lo
	v_add_co_u32 v44, vcc_lo, v53, v81
	v_lshlrev_b64_e32 v[36:37], 1, v[46:47]
	s_wait_alu depctr_va_vcc(0)
	v_add_co_ci_u32_e64 v45, null, 0, v54, vcc_lo
	s_delay_alu instid0(VALU_DEP_3) | instskip(SKIP_1) | instid1(VALU_DEP_2)
	v_add_co_u32 v34, vcc_lo, v44, v34
	s_wait_alu depctr_va_vcc(0)
	v_add_co_ci_u32_e64 v35, null, v45, v35, vcc_lo
	v_add_co_u32 v36, vcc_lo, v44, v36
	s_wait_alu depctr_va_vcc(0)
	v_add_co_ci_u32_e64 v37, null, v45, v37, vcc_lo
.LBB0_17:                               ; %.peel.next
                                        ;   Parent Loop BB0_3 Depth=1
                                        ;     Parent Loop BB0_6 Depth=2
                                        ; =>    This Inner Loop Header: Depth=3
	.loc	1 65 28                         ; grouped_gemm.py:65:28
	global_load_b128 v[44:47], v[36:37], off
	global_load_b128 v[53:56], v[34:35], off
	.loc	1 69 26                         ; grouped_gemm.py:69:26
	v_add_co_u32 v48, vcc_lo, v42, v40
	s_wait_alu depctr_va_vcc(0)
	v_add_co_ci_u32_e64 v49, null, v43, v41, vcc_lo
	.loc	1 65 28                         ; grouped_gemm.py:65:28
	v_add_co_u32 v111, vcc_lo, v38, v40
	s_wait_alu depctr_va_vcc(0)
	v_add_co_ci_u32_e64 v112, null, v39, v41, vcc_lo
	;; [unrolled: 4-line block ×3, first 2 shown]
	v_add_co_u32 v34, vcc_lo, v34, 64
	s_wait_alu depctr_va_vcc(0)
	v_add_co_ci_u32_e64 v35, null, 0, v35, vcc_lo
	v_add_co_u32 v36, vcc_lo, v36, 64
	s_wait_alu depctr_va_vcc(0)
	v_add_co_ci_u32_e64 v37, null, 0, v37, vcc_lo
	s_wait_alu depctr_sa_sdst(0)
	s_add_co_i32 s37, s37, -1
	s_wait_alu depctr_sa_sdst(0)
	s_cmp_lg_u32 s37, 0
	.loc	1 65 28                         ; grouped_gemm.py:65:28
	s_wait_loadcnt_dscnt 0x0
	s_barrier_signal -1
	s_barrier_wait -1
	global_inv scope:SCOPE_SE
	.loc	1 66 28                         ; grouped_gemm.py:66:28
	ds_load_u16 v58, v80 offset:4352
	ds_load_u16 v57, v80 offset:4096
	ds_load_u16 v59, v80 offset:4608
	ds_load_u16 v60, v80 offset:4864
	ds_load_u16 v61, v80 offset:6144
	ds_load_u16 v62, v80 offset:6400
	ds_load_u16 v63, v80 offset:6656
	ds_load_u16 v65, v80 offset:4160
	ds_load_u16 v88, v80 offset:6464
	s_clause 0x1
	global_load_b128 v[107:110], v[48:49], off
	global_load_b128 v[111:114], v[111:112], off
	s_wait_dscnt 0x8
	ds_load_u16_d16_hi v58, v80 offset:4480
	ds_load_u16 v67, v80 offset:4672
	ds_load_u16 v68, v80 offset:4928
	;; [unrolled: 1-line block ×4, first 2 shown]
	s_wait_dscnt 0x7
	ds_load_u16_d16_hi v63, v80 offset:6784
	s_wait_dscnt 0x6
	ds_load_u16_d16_hi v88, v80 offset:6592
	ds_load_u16 v89, v80 offset:6720
	.loc	1 65 28                         ; grouped_gemm.py:65:28
	ds_load_b128 v[91:94], v85
	.loc	1 66 28                         ; grouped_gemm.py:66:28
	ds_load_u16_d16_hi v57, v80 offset:4224
	ds_load_u16_d16_hi v65, v80 offset:4288
	ds_load_u16 v66, v80 offset:4416
	s_wait_dscnt 0x7
	ds_load_u16_d16_hi v64, v80 offset:7040
	ds_load_u16 v90, v80 offset:6976
	s_wait_dscnt 0x6
	ds_load_u16_d16_hi v89, v80 offset:6848
	.loc	1 65 28                         ; grouped_gemm.py:65:28
	ds_load_b128 v[95:98], v85 offset:2048
	ds_load_b128 v[99:102], v84
	ds_load_b128 v[103:106], v84 offset:2048
	.loc	1 66 28                         ; grouped_gemm.py:66:28
	ds_load_u16_d16_hi v59, v80 offset:4736
	ds_load_u16_d16_hi v60, v80 offset:4992
	;; [unrolled: 1-line block ×7, first 2 shown]
	s_wait_dscnt 0xd
	ds_load_u16_d16_hi v66, v80 offset:4544
	s_wait_dscnt 0xc
	ds_load_u16_d16_hi v90, v80 offset:7104
	.loc	1 67 41                         ; grouped_gemm.py:67:41
	s_wait_dscnt 0x7
	v_wmma_f32_16x16x16_f16 v[16:23], v[57:60], v[91:94], v[16:23]
	v_wmma_f32_16x16x16_f16 v[8:15], v[57:60], v[95:98], v[8:15]
	s_wait_dscnt 0x5
	s_delay_alu instid0(VALU_DEP_2)
	v_wmma_f32_16x16x16_f16 v[16:23], v[61:64], v[99:102], v[16:23]
	s_wait_dscnt 0x1
	v_wmma_f32_16x16x16_f16 v[24:31], v[65:68], v[91:94], v[24:31]
	v_wmma_f32_16x16x16_f16 v[0:7], v[65:68], v[95:98], v[0:7]
	;; [unrolled: 1-line block ×3, first 2 shown]
	s_wait_dscnt 0x0
	s_delay_alu instid0(VALU_DEP_3) | instskip(NEXT) | instid1(VALU_DEP_3)
	v_wmma_f32_16x16x16_f16 v[24:31], v[87:90], v[99:102], v[24:31]
	v_wmma_f32_16x16x16_f16 v[0:7], v[87:90], v[103:106], v[0:7]
	.loc	1 65 28                         ; grouped_gemm.py:65:28
	s_wait_loadcnt 0x0
	s_barrier_signal -1
	s_barrier_wait -1
	global_inv scope:SCOPE_SE
	ds_store_b128 v83, v[44:47]
	ds_store_b128 v83, v[53:56] offset:2048
	.loc	1 66 28                         ; grouped_gemm.py:66:28
	ds_store_b128 v86, v[107:110] offset:4096
	ds_store_b128 v86, v[111:114] offset:6144
	.loc	1 60 31                         ; grouped_gemm.py:60:31
	s_cbranch_scc1 .LBB0_17
.LBB0_18:                               ; %._crit_edge
                                        ;   in Loop: Header=BB0_6 Depth=2
	.loc	1 65 28                         ; grouped_gemm.py:65:28
	s_wait_loadcnt_dscnt 0x0
	s_barrier_signal -1
	.loc	1 67 41                         ; grouped_gemm.py:67:41
	s_and_b32 vcc_lo, exec_lo, s0
	.loc	1 65 28                         ; grouped_gemm.py:65:28
	s_barrier_wait -1
	global_inv scope:SCOPE_SE
	.loc	1 67 41                         ; grouped_gemm.py:67:41
	s_wait_alu depctr_sa_sdst(0)
	s_cbranch_vccnz .LBB0_5
; %bb.19:                               ;   in Loop: Header=BB0_6 Depth=2
	.loc	1 66 28                         ; grouped_gemm.py:66:28
	ds_load_u16 v32, v80 offset:6144
	ds_load_u16 v39, v80 offset:4928
	;; [unrolled: 1-line block ×7, first 2 shown]
	s_wait_dscnt 0x6
	ds_load_u16_d16_hi v32, v80 offset:6272
	ds_load_u16 v43, v80 offset:4864
	ds_load_u16 v42, v80 offset:4608
	;; [unrolled: 1-line block ×9, first 2 shown]
	s_wait_dscnt 0xf
	ds_load_u16_d16_hi v39, v80 offset:5056
	s_wait_dscnt 0xf
	ds_load_u16_d16_hi v33, v80 offset:6528
	.loc	1 65 28                         ; grouped_gemm.py:65:28
	ds_load_b128 v[53:56], v84
	ds_load_b128 v[57:60], v85 offset:2048
	ds_load_b128 v[61:64], v85
	.loc	1 66 28                         ; grouped_gemm.py:66:28
	s_wait_dscnt 0x11
	ds_load_u16_d16_hi v41, v80 offset:4480
	ds_load_u16_d16_hi v36, v80 offset:4288
	s_wait_dscnt 0x12
	ds_load_u16_d16_hi v38, v80 offset:4800
	s_wait_dscnt 0x12
	;; [unrolled: 2-line block ×11, first 2 shown]
	ds_load_u16_d16_hi v44, v80 offset:6336
	.loc	1 65 28                         ; grouped_gemm.py:65:28
	ds_load_b128 v[65:68], v84 offset:2048
	.loc	1 67 41                         ; grouped_gemm.py:67:41
	s_wait_dscnt 0xa
	v_wmma_f32_16x16x16_f16 v[24:31], v[36:39], v[61:64], v[24:31]
	v_wmma_f32_16x16x16_f16 v[0:7], v[36:39], v[57:60], v[0:7]
	s_wait_dscnt 0x7
	v_wmma_f32_16x16x16_f16 v[16:23], v[40:43], v[61:64], v[16:23]
	v_wmma_f32_16x16x16_f16 v[8:15], v[40:43], v[57:60], v[8:15]
	s_wait_dscnt 0x2
	s_delay_alu instid0(VALU_DEP_2)
	v_wmma_f32_16x16x16_f16 v[16:23], v[32:35], v[53:56], v[16:23]
	s_wait_dscnt 0x1
	v_wmma_f32_16x16x16_f16 v[24:31], v[44:47], v[53:56], v[24:31]
	s_wait_dscnt 0x0
	v_wmma_f32_16x16x16_f16 v[8:15], v[32:35], v[65:68], v[8:15]
	v_wmma_f32_16x16x16_f16 v[0:7], v[44:47], v[65:68], v[0:7]
	s_branch .LBB0_5
.LBB0_20:                               ; %._crit_edge80
	.loc	1 30 4                          ; grouped_gemm.py:30:4
	s_nop 0
	s_sendmsg sendmsg(MSG_DEALLOC_VGPRS)
	s_endpgm
.Ltmp18:
	.section	.rodata,"a",@progbits
	.p2align	6, 0x0
	.amdhsa_kernel grouped_matmul_kernel
		.amdhsa_group_segment_fixed_size 0
		.amdhsa_private_segment_fixed_size 0
		.amdhsa_kernarg_size 64
		.amdhsa_user_sgpr_count 2
		.amdhsa_user_sgpr_dispatch_ptr 0
		.amdhsa_user_sgpr_queue_ptr 0
		.amdhsa_user_sgpr_kernarg_segment_ptr 1
		.amdhsa_user_sgpr_dispatch_id 0
		.amdhsa_user_sgpr_private_segment_size 0
		.amdhsa_wavefront_size32 1
		.amdhsa_uses_dynamic_stack 0
		.amdhsa_enable_private_segment 0
		.amdhsa_system_sgpr_workgroup_id_x 1
		.amdhsa_system_sgpr_workgroup_id_y 1
		.amdhsa_system_sgpr_workgroup_id_z 1
		.amdhsa_system_sgpr_workgroup_info 0
		.amdhsa_system_vgpr_workitem_id 0
		.amdhsa_next_free_vgpr 115
		.amdhsa_next_free_sgpr 42
		.amdhsa_reserve_vcc 1
		.amdhsa_float_round_mode_32 0
		.amdhsa_float_round_mode_16_64 0
		.amdhsa_float_denorm_mode_32 3
		.amdhsa_float_denorm_mode_16_64 3
		.amdhsa_fp16_overflow 0
		.amdhsa_workgroup_processor_mode 1
		.amdhsa_memory_ordered 1
		.amdhsa_forward_progress 1
		.amdhsa_inst_pref_size 32
		.amdhsa_round_robin_scheduling 0
		.amdhsa_exception_fp_ieee_invalid_op 0
		.amdhsa_exception_fp_denorm_src 0
		.amdhsa_exception_fp_ieee_div_zero 0
		.amdhsa_exception_fp_ieee_overflow 0
		.amdhsa_exception_fp_ieee_underflow 0
		.amdhsa_exception_fp_ieee_inexact 0
		.amdhsa_exception_int_div_zero 0
	.end_amdhsa_kernel
	.text
.Lfunc_end0:
	.size	grouped_matmul_kernel, .Lfunc_end0-grouped_matmul_kernel
	.cfi_endproc
                                        ; -- End function
	.set grouped_matmul_kernel.num_vgpr, 115
	.set grouped_matmul_kernel.num_agpr, 0
	.set grouped_matmul_kernel.numbered_sgpr, 42
	.set grouped_matmul_kernel.num_named_barrier, 0
	.set grouped_matmul_kernel.private_seg_size, 0
	.set grouped_matmul_kernel.uses_vcc, 1
	.set grouped_matmul_kernel.uses_flat_scratch, 0
	.set grouped_matmul_kernel.has_dyn_sized_stack, 0
	.set grouped_matmul_kernel.has_recursion, 0
	.set grouped_matmul_kernel.has_indirect_call, 0
	.section	.AMDGPU.csdata,"",@progbits
; Kernel info:
; codeLenInByte = 3980
; TotalNumSgprs: 44
; NumVgprs: 115
; ScratchSize: 0
; MemoryBound: 1
; FloatMode: 240
; IeeeMode: 1
; LDSByteSize: 0 bytes/workgroup (compile time only)
; SGPRBlocks: 0
; VGPRBlocks: 14
; NumSGPRsForWavesPerEU: 44
; NumVGPRsForWavesPerEU: 115
; Occupancy: 12
; WaveLimiterHint : 1
; COMPUTE_PGM_RSRC2:SCRATCH_EN: 0
; COMPUTE_PGM_RSRC2:USER_SGPR: 2
; COMPUTE_PGM_RSRC2:TRAP_HANDLER: 0
; COMPUTE_PGM_RSRC2:TGID_X_EN: 1
; COMPUTE_PGM_RSRC2:TGID_Y_EN: 1
; COMPUTE_PGM_RSRC2:TGID_Z_EN: 1
; COMPUTE_PGM_RSRC2:TIDIG_COMP_CNT: 0
	.text
	.p2alignl 7, 3214868480
	.fill 96, 4, 3214868480
	.section	.AMDGPU.gpr_maximums,"",@progbits
	.set amdgpu.max_num_vgpr, 0
	.set amdgpu.max_num_agpr, 0
	.set amdgpu.max_num_sgpr, 0
	.set amdgpu.max_num_named_barrier, 0
	.text
	.section	.debug_abbrev,"",@progbits
	.byte	1                               ; Abbreviation Code
	.byte	17                              ; DW_TAG_compile_unit
	.byte	1                               ; DW_CHILDREN_yes
	.byte	37                              ; DW_AT_producer
	.byte	14                              ; DW_FORM_strp
	.byte	19                              ; DW_AT_language
	.byte	5                               ; DW_FORM_data2
	.byte	3                               ; DW_AT_name
	.byte	14                              ; DW_FORM_strp
	.byte	16                              ; DW_AT_stmt_list
	.byte	23                              ; DW_FORM_sec_offset
	.byte	27                              ; DW_AT_comp_dir
	.byte	14                              ; DW_FORM_strp
	.byte	17                              ; DW_AT_low_pc
	.byte	1                               ; DW_FORM_addr
	.byte	18                              ; DW_AT_high_pc
	.byte	6                               ; DW_FORM_data4
	.byte	0                               ; EOM(1)
	.byte	0                               ; EOM(2)
	.byte	2                               ; Abbreviation Code
	.byte	46                              ; DW_TAG_subprogram
	.byte	0                               ; DW_CHILDREN_no
	.byte	3                               ; DW_AT_name
	.byte	14                              ; DW_FORM_strp
	.byte	32                              ; DW_AT_inline
	.byte	11                              ; DW_FORM_data1
	.byte	0                               ; EOM(1)
	.byte	0                               ; EOM(2)
	.byte	3                               ; Abbreviation Code
	.byte	46                              ; DW_TAG_subprogram
	.byte	1                               ; DW_CHILDREN_yes
	.byte	17                              ; DW_AT_low_pc
	.byte	1                               ; DW_FORM_addr
	.byte	18                              ; DW_AT_high_pc
	.byte	6                               ; DW_FORM_data4
	.byte	49                              ; DW_AT_abstract_origin
	.byte	19                              ; DW_FORM_ref4
	.byte	0                               ; EOM(1)
	.byte	0                               ; EOM(2)
	.byte	4                               ; Abbreviation Code
	.byte	29                              ; DW_TAG_inlined_subroutine
	.byte	0                               ; DW_CHILDREN_no
	.byte	49                              ; DW_AT_abstract_origin
	.byte	19                              ; DW_FORM_ref4
	.byte	85                              ; DW_AT_ranges
	.byte	23                              ; DW_FORM_sec_offset
	.byte	88                              ; DW_AT_call_file
	.byte	11                              ; DW_FORM_data1
	.byte	89                              ; DW_AT_call_line
	.byte	11                              ; DW_FORM_data1
	.byte	87                              ; DW_AT_call_column
	.byte	11                              ; DW_FORM_data1
	.byte	0                               ; EOM(1)
	.byte	0                               ; EOM(2)
	;; [unrolled: 1-line block ×3, first 2 shown]
	.section	.debug_info,"",@progbits
.Lcu_begin0:
	.long	.Ldebug_info_end0-.Ldebug_info_start0 ; Length of Unit
.Ldebug_info_start0:
	.short	4                               ; DWARF version number
	.long	.debug_abbrev                   ; Offset Into Abbrev. Section
	.byte	8                               ; Address Size (in bytes)
	.byte	1                               ; Abbrev [1] 0xb:0x5c DW_TAG_compile_unit
	.long	.Linfo_string0                  ; DW_AT_producer
	.short	2                               ; DW_AT_language
	.long	.Linfo_string1                  ; DW_AT_name
	.long	.Lline_table_start0             ; DW_AT_stmt_list
	.long	.Linfo_string2                  ; DW_AT_comp_dir
	.quad	.Lfunc_begin0                   ; DW_AT_low_pc
	.long	.Lfunc_end0-.Lfunc_begin0       ; DW_AT_high_pc
	.byte	2                               ; Abbrev [2] 0x2a:0x6 DW_TAG_subprogram
	.long	.Linfo_string3                  ; DW_AT_name
	.byte	1                               ; DW_AT_inline
	.byte	3                               ; Abbrev [3] 0x30:0x36 DW_TAG_subprogram
	.quad	.Lfunc_begin0                   ; DW_AT_low_pc
	.long	.Lfunc_end0-.Lfunc_begin0       ; DW_AT_high_pc
	.long	42                              ; DW_AT_abstract_origin
	.byte	4                               ; Abbrev [4] 0x41:0xc DW_TAG_inlined_subroutine
	.long	42                              ; DW_AT_abstract_origin
	.long	.Ldebug_ranges0                 ; DW_AT_ranges
	.byte	1                               ; DW_AT_call_file
	.byte	35                              ; DW_AT_call_line
	.byte	34                              ; DW_AT_call_column
	.byte	4                               ; Abbrev [4] 0x4d:0xc DW_TAG_inlined_subroutine
	.long	42                              ; DW_AT_abstract_origin
	.long	.Ldebug_ranges1                 ; DW_AT_ranges
	.byte	1                               ; DW_AT_call_file
	.byte	36                              ; DW_AT_call_line
	.byte	34                              ; DW_AT_call_column
	;; [unrolled: 6-line block ×3, first 2 shown]
	.byte	0                               ; End Of Children Mark
	.byte	0                               ; End Of Children Mark
.Ldebug_info_end0:
	.section	.debug_ranges,"",@progbits
.Ldebug_ranges0:
	.quad	.Ltmp1-.Lfunc_begin0
	.quad	.Ltmp2-.Lfunc_begin0
	;; [unrolled: 1-line block ×10, first 2 shown]
	.quad	0
	.quad	0
.Ldebug_ranges1:
	.quad	.Ltmp2-.Lfunc_begin0
	.quad	.Ltmp3-.Lfunc_begin0
	;; [unrolled: 1-line block ×10, first 2 shown]
	.quad	0
	.quad	0
.Ldebug_ranges2:
	.quad	.Ltmp12-.Lfunc_begin0
	.quad	.Ltmp13-.Lfunc_begin0
	;; [unrolled: 1-line block ×6, first 2 shown]
	.quad	0
	.quad	0
	.section	.debug_str,"MS",@progbits,1
.Linfo_string0:
	.asciz	"triton"                        ; string offset=0
.Linfo_string1:
	.asciz	"grouped_gemm.py"               ; string offset=7
.Linfo_string2:
	.asciz	"/root/src/amdgpu-assembly/repos/triton-lang__triton-aot" ; string offset=23
.Linfo_string3:
	.asciz	"grouped_matmul_kernel"         ; string offset=79
	.section	".note.GNU-stack","",@progbits
	.amdgpu_metadata
---
amdhsa.kernels:
  - .args:
      - .address_space:  global
        .offset:         0
        .size:           8
        .value_kind:     global_buffer
      - .address_space:  global
        .offset:         8
        .size:           8
        .value_kind:     global_buffer
      - .address_space:  global
        .offset:         16
        .size:           8
        .value_kind:     global_buffer
      - .address_space:  global
        .offset:         24
        .size:           8
        .value_kind:     global_buffer
      - .address_space:  global
        .offset:         32
        .size:           8
        .value_kind:     global_buffer
      - .offset:         40
        .size:           4
        .value_kind:     by_value
      - .address_space:  global
        .offset:         48
        .size:           8
        .value_kind:     global_buffer
      - .address_space:  global
        .offset:         56
        .size:           8
        .value_kind:     global_buffer
    .group_segment_fixed_size: 0
    .kernarg_segment_align: 8
    .kernarg_segment_size: 64
    .max_flat_workgroup_size: 128
    .name:           grouped_matmul_kernel
    .private_segment_fixed_size: 0
    .sgpr_count:     44
    .sgpr_spill_count: 0
    .symbol:         grouped_matmul_kernel.kd
    .uniform_work_group_size: 1
    .uses_dynamic_stack: false
    .vgpr_count:     115
    .vgpr_spill_count: 0
    .wavefront_size: 32
    .workgroup_processor_mode: 1
amdhsa.target:   amdgcn-amd-amdhsa--gfx1201
amdhsa.version:
  - 1
  - 2
...

	.end_amdgpu_metadata
	.section	.debug_line,"",@progbits
.Lline_table_start0:
